;; amdgpu-corpus repo=ROCm/bitsandbytes kind=harvested arch=n/a opt=n/a
	.text
	.amdgcn_target "amdgcn-amd-amdhsa--gfx942"
	.amdhsa_code_object_version 6
	.protected	_Z27kspmm_coo_very_sparse_naiveIaLi8ELi8EEvPiS0_S0_S0_S0_P6__halfPT_S2_Pfiiii ; -- Begin function _Z27kspmm_coo_very_sparse_naiveIaLi8ELi8EEvPiS0_S0_S0_S0_P6__halfPT_S2_Pfiiii
	.globl	_Z27kspmm_coo_very_sparse_naiveIaLi8ELi8EEvPiS0_S0_S0_S0_P6__halfPT_S2_Pfiiii
	.p2align	8
	.type	_Z27kspmm_coo_very_sparse_naiveIaLi8ELi8EEvPiS0_S0_S0_S0_P6__halfPT_S2_Pfiiii,@function
_Z27kspmm_coo_very_sparse_naiveIaLi8ELi8EEvPiS0_S0_S0_S0_P6__halfPT_S2_Pfiiii: ; @_Z27kspmm_coo_very_sparse_naiveIaLi8ELi8EEvPiS0_S0_S0_S0_P6__halfPT_S2_Pfiiii
; %bb.0:
	s_load_dwordx16 s[12:27], s[0:1], 0x0
	s_mov_b32 s3, 0
	s_lshl_b64 s[4:5], s[2:3], 2
	s_waitcnt lgkmcnt(0)
	s_add_u32 s6, s12, s4
	s_addc_u32 s7, s13, s5
	s_add_u32 s8, s14, s4
	s_addc_u32 s9, s15, s5
	s_load_dword s4, s[8:9], 0x0
	s_load_dword s33, s[6:7], 0x0
	s_mov_b32 s6, 0
	s_waitcnt lgkmcnt(0)
	s_cmp_eq_u32 s4, 0
	s_cbranch_scc1 .LBB34_2
; %bb.1:
	s_ashr_i32 s5, s4, 31
	s_lshl_b64 s[4:5], s[4:5], 2
	s_add_u32 s2, s16, s4
	s_addc_u32 s5, s17, s5
	s_add_u32 s4, s2, -4
	s_addc_u32 s5, s5, -1
	s_load_dword s6, s[4:5], 0x0
.LBB34_2:
	s_waitcnt lgkmcnt(0)
	s_ashr_i32 s7, s6, 31
	s_lshl_b64 s[8:9], s[6:7], 2
	s_add_u32 s10, s18, s8
	s_addc_u32 s11, s19, s9
	s_cmp_lt_i32 s33, 1
	s_cselect_b64 s[4:5], -1, 0
	s_cmp_gt_i32 s33, 0
	v_mov_b32_e32 v1, 0
	v_mov_b32_e32 v2, 0
	s_cbranch_scc0 .LBB34_4
; %bb.3:
	s_lshl_b64 s[2:3], s[6:7], 1
	s_add_u32 s2, s22, s2
	s_addc_u32 s3, s23, s3
	v_mov_b32_e32 v2, 0
	global_load_ushort v2, v2, s[2:3]
	s_add_u32 s2, s20, s8
	s_addc_u32 s3, s21, s9
	s_load_dword s3, s[2:3], 0x0
.LBB34_4:
	s_nop 0
	s_load_dword s53, s[10:11], 0x0
	s_waitcnt vmcnt(0)
	scratch_store_short off, v2, off
	s_waitcnt lgkmcnt(0)
	v_mov_b32_e32 v2, s3
	s_mov_b32 s2, 0
	s_cmp_lt_i32 s33, 2
	s_mov_b32 s3, 0
	scratch_store_dword off, v2, off offset:64
	s_cbranch_scc1 .LBB34_6
; %bb.5:
	s_lshl_b64 s[10:11], s[6:7], 1
	s_add_u32 s10, s22, s10
	s_addc_u32 s11, s23, s11
	v_mov_b32_e32 v1, 0
	global_load_ushort v1, v1, s[10:11] offset:2
	s_add_u32 s10, s20, s8
	s_addc_u32 s11, s21, s9
	s_load_dword s3, s[10:11], 0x4
.LBB34_6:
	s_waitcnt vmcnt(0)
	scratch_store_short off, v1, off offset:2
	s_waitcnt lgkmcnt(0)
	v_mov_b32_e32 v1, s3
	scratch_store_dword off, v1, off offset:68
	s_cmp_lt_i32 s33, 3
	v_mov_b32_e32 v1, 0
	v_mov_b32_e32 v2, 0
	s_cbranch_scc1 .LBB34_8
; %bb.7:
	s_lshl_b64 s[2:3], s[6:7], 1
	s_add_u32 s2, s22, s2
	s_addc_u32 s3, s23, s3
	v_mov_b32_e32 v2, 0
	global_load_ushort v2, v2, s[2:3] offset:4
	s_add_u32 s2, s20, s8
	s_addc_u32 s3, s21, s9
	s_load_dword s2, s[2:3], 0x8
.LBB34_8:
	s_waitcnt vmcnt(0)
	scratch_store_short off, v2, off offset:4
	s_waitcnt lgkmcnt(0)
	v_mov_b32_e32 v2, s2
	s_mov_b32 s2, 0
	s_cmp_lt_i32 s33, 4
	s_mov_b32 s3, 0
	scratch_store_dword off, v2, off offset:72
	s_cbranch_scc1 .LBB34_10
; %bb.9:
	s_lshl_b64 s[10:11], s[6:7], 1
	s_add_u32 s10, s22, s10
	s_addc_u32 s11, s23, s11
	v_mov_b32_e32 v1, 0
	global_load_ushort v1, v1, s[10:11] offset:6
	s_add_u32 s10, s20, s8
	s_addc_u32 s11, s21, s9
	s_load_dword s3, s[10:11], 0xc
.LBB34_10:
	s_waitcnt vmcnt(0)
	scratch_store_short off, v1, off offset:6
	s_waitcnt lgkmcnt(0)
	v_mov_b32_e32 v1, s3
	scratch_store_dword off, v1, off offset:76
	s_cmp_lt_i32 s33, 5
	v_mov_b32_e32 v1, 0
	v_mov_b32_e32 v2, 0
	s_cbranch_scc1 .LBB34_12
; %bb.11:
	s_lshl_b64 s[2:3], s[6:7], 1
	s_add_u32 s2, s22, s2
	s_addc_u32 s3, s23, s3
	v_mov_b32_e32 v2, 0
	global_load_ushort v2, v2, s[2:3] offset:8
	s_add_u32 s2, s20, s8
	s_addc_u32 s3, s21, s9
	s_load_dword s2, s[2:3], 0x10
.LBB34_12:
	s_waitcnt vmcnt(0)
	scratch_store_short off, v2, off offset:8
	s_waitcnt lgkmcnt(0)
	v_mov_b32_e32 v2, s2
	s_mov_b32 s2, 0
	s_cmp_lt_i32 s33, 6
	s_mov_b32 s3, 0
	scratch_store_dword off, v2, off offset:80
	s_cbranch_scc1 .LBB34_14
; %bb.13:
	s_lshl_b64 s[10:11], s[6:7], 1
	s_add_u32 s10, s22, s10
	s_addc_u32 s11, s23, s11
	v_mov_b32_e32 v1, 0
	global_load_ushort v1, v1, s[10:11] offset:10
	s_add_u32 s10, s20, s8
	s_addc_u32 s11, s21, s9
	s_load_dword s3, s[10:11], 0x14
.LBB34_14:
	s_waitcnt vmcnt(0)
	scratch_store_short off, v1, off offset:10
	s_waitcnt lgkmcnt(0)
	v_mov_b32_e32 v1, s3
	scratch_store_dword off, v1, off offset:84
	s_cmp_lt_i32 s33, 7
	v_mov_b32_e32 v1, 0
	v_mov_b32_e32 v2, 0
	s_cbranch_scc1 .LBB34_16
; %bb.15:
	s_lshl_b64 s[2:3], s[6:7], 1
	s_add_u32 s2, s22, s2
	s_addc_u32 s3, s23, s3
	v_mov_b32_e32 v2, 0
	global_load_ushort v2, v2, s[2:3] offset:12
	s_add_u32 s2, s20, s8
	s_addc_u32 s3, s21, s9
	s_load_dword s2, s[2:3], 0x18
.LBB34_16:
	s_waitcnt vmcnt(0)
	scratch_store_short off, v2, off offset:12
	s_waitcnt lgkmcnt(0)
	v_mov_b32_e32 v2, s2
	s_mov_b32 s2, 0
	s_cmp_lt_i32 s33, 8
	s_mov_b32 s3, 0
	scratch_store_dword off, v2, off offset:88
	s_cbranch_scc1 .LBB34_18
; %bb.17:
	s_lshl_b64 s[10:11], s[6:7], 1
	s_add_u32 s10, s22, s10
	s_addc_u32 s11, s23, s11
	v_mov_b32_e32 v1, 0
	global_load_ushort v1, v1, s[10:11] offset:14
	s_add_u32 s10, s20, s8
	s_addc_u32 s11, s21, s9
	s_load_dword s3, s[10:11], 0x1c
.LBB34_18:
	s_waitcnt vmcnt(0)
	scratch_store_short off, v1, off offset:14
	s_waitcnt lgkmcnt(0)
	v_mov_b32_e32 v1, s3
	scratch_store_dword off, v1, off offset:92
	s_cmp_lt_i32 s33, 9
	v_mov_b32_e32 v1, 0
	v_mov_b32_e32 v2, 0
	s_cbranch_scc1 .LBB34_20
; %bb.19:
	s_lshl_b64 s[2:3], s[6:7], 1
	s_add_u32 s2, s22, s2
	s_addc_u32 s3, s23, s3
	v_mov_b32_e32 v2, 0
	global_load_ushort v2, v2, s[2:3] offset:16
	s_add_u32 s2, s20, s8
	s_addc_u32 s3, s21, s9
	s_load_dword s2, s[2:3], 0x20
.LBB34_20:
	s_waitcnt vmcnt(0)
	scratch_store_short off, v2, off offset:16
	s_waitcnt lgkmcnt(0)
	v_mov_b32_e32 v2, s2
	s_mov_b32 s2, 0
	s_cmp_lt_i32 s33, 10
	s_mov_b32 s3, 0
	scratch_store_dword off, v2, off offset:96
	s_cbranch_scc1 .LBB34_22
; %bb.21:
	s_lshl_b64 s[10:11], s[6:7], 1
	s_add_u32 s10, s22, s10
	s_addc_u32 s11, s23, s11
	v_mov_b32_e32 v1, 0
	global_load_ushort v1, v1, s[10:11] offset:18
	s_add_u32 s10, s20, s8
	s_addc_u32 s11, s21, s9
	s_load_dword s3, s[10:11], 0x24
.LBB34_22:
	s_waitcnt vmcnt(0)
	scratch_store_short off, v1, off offset:18
	s_waitcnt lgkmcnt(0)
	v_mov_b32_e32 v1, s3
	scratch_store_dword off, v1, off offset:100
	s_cmp_lt_i32 s33, 11
	v_mov_b32_e32 v1, 0
	v_mov_b32_e32 v2, 0
	s_cbranch_scc1 .LBB34_24
; %bb.23:
	s_lshl_b64 s[2:3], s[6:7], 1
	s_add_u32 s2, s22, s2
	s_addc_u32 s3, s23, s3
	v_mov_b32_e32 v2, 0
	global_load_ushort v2, v2, s[2:3] offset:20
	s_add_u32 s2, s20, s8
	s_addc_u32 s3, s21, s9
	s_load_dword s2, s[2:3], 0x28
.LBB34_24:
	s_waitcnt vmcnt(0)
	scratch_store_short off, v2, off offset:20
	s_waitcnt lgkmcnt(0)
	v_mov_b32_e32 v2, s2
	s_mov_b32 s2, 0
	s_cmp_lt_i32 s33, 12
	s_mov_b32 s3, 0
	scratch_store_dword off, v2, off offset:104
	s_cbranch_scc1 .LBB34_26
; %bb.25:
	s_lshl_b64 s[10:11], s[6:7], 1
	s_add_u32 s10, s22, s10
	s_addc_u32 s11, s23, s11
	v_mov_b32_e32 v1, 0
	global_load_ushort v1, v1, s[10:11] offset:22
	s_add_u32 s10, s20, s8
	s_addc_u32 s11, s21, s9
	s_load_dword s3, s[10:11], 0x2c
.LBB34_26:
	s_waitcnt vmcnt(0)
	scratch_store_short off, v1, off offset:22
	s_waitcnt lgkmcnt(0)
	v_mov_b32_e32 v1, s3
	scratch_store_dword off, v1, off offset:108
	s_cmp_lt_i32 s33, 13
	v_mov_b32_e32 v1, 0
	v_mov_b32_e32 v2, 0
	s_cbranch_scc1 .LBB34_28
; %bb.27:
	s_lshl_b64 s[2:3], s[6:7], 1
	s_add_u32 s2, s22, s2
	s_addc_u32 s3, s23, s3
	v_mov_b32_e32 v2, 0
	global_load_ushort v2, v2, s[2:3] offset:24
	s_add_u32 s2, s20, s8
	s_addc_u32 s3, s21, s9
	s_load_dword s2, s[2:3], 0x30
.LBB34_28:
	s_waitcnt vmcnt(0)
	scratch_store_short off, v2, off offset:24
	s_waitcnt lgkmcnt(0)
	v_mov_b32_e32 v2, s2
	s_mov_b32 s2, 0
	s_cmp_lt_i32 s33, 14
	s_mov_b32 s3, 0
	scratch_store_dword off, v2, off offset:112
	s_cbranch_scc1 .LBB34_30
; %bb.29:
	s_lshl_b64 s[10:11], s[6:7], 1
	s_add_u32 s10, s22, s10
	s_addc_u32 s11, s23, s11
	v_mov_b32_e32 v1, 0
	global_load_ushort v1, v1, s[10:11] offset:26
	s_add_u32 s10, s20, s8
	s_addc_u32 s11, s21, s9
	s_load_dword s3, s[10:11], 0x34
.LBB34_30:
	s_waitcnt vmcnt(0)
	scratch_store_short off, v1, off offset:26
	s_waitcnt lgkmcnt(0)
	v_mov_b32_e32 v1, s3
	scratch_store_dword off, v1, off offset:116
	s_cmp_lt_i32 s33, 15
	v_mov_b32_e32 v1, 0
	v_mov_b32_e32 v2, 0
	s_cbranch_scc1 .LBB34_32
; %bb.31:
	s_lshl_b64 s[2:3], s[6:7], 1
	s_add_u32 s2, s22, s2
	s_addc_u32 s3, s23, s3
	v_mov_b32_e32 v2, 0
	global_load_ushort v2, v2, s[2:3] offset:28
	s_add_u32 s2, s20, s8
	s_addc_u32 s3, s21, s9
	s_load_dword s2, s[2:3], 0x38
.LBB34_32:
	s_waitcnt vmcnt(0)
	scratch_store_short off, v2, off offset:28
	s_waitcnt lgkmcnt(0)
	v_mov_b32_e32 v2, s2
	s_mov_b32 s2, 0
	s_cmp_lt_i32 s33, 16
	s_mov_b32 s3, 0
	scratch_store_dword off, v2, off offset:120
	s_cbranch_scc1 .LBB34_34
; %bb.33:
	s_lshl_b64 s[10:11], s[6:7], 1
	s_add_u32 s10, s22, s10
	s_addc_u32 s11, s23, s11
	v_mov_b32_e32 v1, 0
	global_load_ushort v1, v1, s[10:11] offset:30
	s_add_u32 s10, s20, s8
	s_addc_u32 s11, s21, s9
	s_load_dword s3, s[10:11], 0x3c
.LBB34_34:
	s_waitcnt vmcnt(0)
	scratch_store_short off, v1, off offset:30
	s_waitcnt lgkmcnt(0)
	v_mov_b32_e32 v1, s3
	scratch_store_dword off, v1, off offset:124
	s_cmp_lt_i32 s33, 17
	v_mov_b32_e32 v1, 0
	v_mov_b32_e32 v2, 0
	s_cbranch_scc1 .LBB34_36
; %bb.35:
	s_lshl_b64 s[2:3], s[6:7], 1
	s_add_u32 s2, s22, s2
	s_addc_u32 s3, s23, s3
	v_mov_b32_e32 v2, 0
	global_load_ushort v2, v2, s[2:3] offset:32
	s_add_u32 s2, s20, s8
	s_addc_u32 s3, s21, s9
	s_load_dword s2, s[2:3], 0x40
.LBB34_36:
	s_waitcnt vmcnt(0)
	scratch_store_short off, v2, off offset:32
	s_waitcnt lgkmcnt(0)
	v_mov_b32_e32 v2, s2
	s_mov_b32 s2, 0
	s_cmp_lt_i32 s33, 18
	s_mov_b32 s3, 0
	scratch_store_dword off, v2, off offset:128
	s_cbranch_scc1 .LBB34_38
; %bb.37:
	s_lshl_b64 s[10:11], s[6:7], 1
	s_add_u32 s10, s22, s10
	s_addc_u32 s11, s23, s11
	v_mov_b32_e32 v1, 0
	global_load_ushort v1, v1, s[10:11] offset:34
	s_add_u32 s10, s20, s8
	s_addc_u32 s11, s21, s9
	s_load_dword s3, s[10:11], 0x44
.LBB34_38:
	s_waitcnt vmcnt(0)
	scratch_store_short off, v1, off offset:34
	s_waitcnt lgkmcnt(0)
	v_mov_b32_e32 v1, s3
	scratch_store_dword off, v1, off offset:132
	s_cmp_lt_i32 s33, 19
	v_mov_b32_e32 v1, 0
	v_mov_b32_e32 v2, 0
	s_cbranch_scc1 .LBB34_40
; %bb.39:
	s_lshl_b64 s[2:3], s[6:7], 1
	s_add_u32 s2, s22, s2
	s_addc_u32 s3, s23, s3
	v_mov_b32_e32 v2, 0
	global_load_ushort v2, v2, s[2:3] offset:36
	s_add_u32 s2, s20, s8
	s_addc_u32 s3, s21, s9
	s_load_dword s2, s[2:3], 0x48
.LBB34_40:
	s_waitcnt vmcnt(0)
	scratch_store_short off, v2, off offset:36
	s_waitcnt lgkmcnt(0)
	v_mov_b32_e32 v2, s2
	s_mov_b32 s2, 0
	s_cmp_lt_i32 s33, 20
	s_mov_b32 s3, 0
	scratch_store_dword off, v2, off offset:136
	s_cbranch_scc1 .LBB34_42
; %bb.41:
	s_lshl_b64 s[10:11], s[6:7], 1
	s_add_u32 s10, s22, s10
	s_addc_u32 s11, s23, s11
	v_mov_b32_e32 v1, 0
	global_load_ushort v1, v1, s[10:11] offset:38
	s_add_u32 s10, s20, s8
	s_addc_u32 s11, s21, s9
	s_load_dword s3, s[10:11], 0x4c
.LBB34_42:
	s_waitcnt vmcnt(0)
	scratch_store_short off, v1, off offset:38
	s_waitcnt lgkmcnt(0)
	v_mov_b32_e32 v1, s3
	scratch_store_dword off, v1, off offset:140
	s_cmp_lt_i32 s33, 21
	v_mov_b32_e32 v1, 0
	v_mov_b32_e32 v2, 0
	s_cbranch_scc1 .LBB34_44
; %bb.43:
	s_lshl_b64 s[2:3], s[6:7], 1
	s_add_u32 s2, s22, s2
	s_addc_u32 s3, s23, s3
	v_mov_b32_e32 v2, 0
	global_load_ushort v2, v2, s[2:3] offset:40
	s_add_u32 s2, s20, s8
	s_addc_u32 s3, s21, s9
	s_load_dword s2, s[2:3], 0x50
.LBB34_44:
	s_waitcnt vmcnt(0)
	scratch_store_short off, v2, off offset:40
	s_waitcnt lgkmcnt(0)
	v_mov_b32_e32 v2, s2
	s_mov_b32 s2, 0
	s_cmp_lt_i32 s33, 22
	s_mov_b32 s3, 0
	scratch_store_dword off, v2, off offset:144
	s_cbranch_scc1 .LBB34_46
; %bb.45:
	s_lshl_b64 s[10:11], s[6:7], 1
	s_add_u32 s10, s22, s10
	s_addc_u32 s11, s23, s11
	v_mov_b32_e32 v1, 0
	global_load_ushort v1, v1, s[10:11] offset:42
	s_add_u32 s10, s20, s8
	s_addc_u32 s11, s21, s9
	s_load_dword s3, s[10:11], 0x54
.LBB34_46:
	s_waitcnt vmcnt(0)
	scratch_store_short off, v1, off offset:42
	s_waitcnt lgkmcnt(0)
	v_mov_b32_e32 v1, s3
	scratch_store_dword off, v1, off offset:148
	s_cmp_lt_i32 s33, 23
	v_mov_b32_e32 v1, 0
	v_mov_b32_e32 v2, 0
	s_cbranch_scc1 .LBB34_48
; %bb.47:
	s_lshl_b64 s[2:3], s[6:7], 1
	s_add_u32 s2, s22, s2
	s_addc_u32 s3, s23, s3
	v_mov_b32_e32 v2, 0
	global_load_ushort v2, v2, s[2:3] offset:44
	s_add_u32 s2, s20, s8
	s_addc_u32 s3, s21, s9
	s_load_dword s2, s[2:3], 0x58
.LBB34_48:
	s_waitcnt vmcnt(0)
	scratch_store_short off, v2, off offset:44
	s_waitcnt lgkmcnt(0)
	v_mov_b32_e32 v2, s2
	s_mov_b32 s2, 0
	s_cmp_lt_i32 s33, 24
	s_mov_b32 s3, 0
	scratch_store_dword off, v2, off offset:152
	s_cbranch_scc1 .LBB34_50
; %bb.49:
	s_lshl_b64 s[10:11], s[6:7], 1
	s_add_u32 s10, s22, s10
	s_addc_u32 s11, s23, s11
	v_mov_b32_e32 v1, 0
	global_load_ushort v1, v1, s[10:11] offset:46
	s_add_u32 s10, s20, s8
	s_addc_u32 s11, s21, s9
	s_load_dword s3, s[10:11], 0x5c
.LBB34_50:
	s_waitcnt vmcnt(0)
	scratch_store_short off, v1, off offset:46
	s_waitcnt lgkmcnt(0)
	v_mov_b32_e32 v1, s3
	scratch_store_dword off, v1, off offset:156
	s_cmp_lt_i32 s33, 25
	v_mov_b32_e32 v1, 0
	v_mov_b32_e32 v2, 0
	s_cbranch_scc1 .LBB34_52
; %bb.51:
	s_lshl_b64 s[2:3], s[6:7], 1
	s_add_u32 s2, s22, s2
	s_addc_u32 s3, s23, s3
	v_mov_b32_e32 v2, 0
	global_load_ushort v2, v2, s[2:3] offset:48
	s_add_u32 s2, s20, s8
	s_addc_u32 s3, s21, s9
	s_load_dword s2, s[2:3], 0x60
.LBB34_52:
	s_waitcnt vmcnt(0)
	scratch_store_short off, v2, off offset:48
	s_waitcnt lgkmcnt(0)
	v_mov_b32_e32 v2, s2
	s_mov_b32 s2, 0
	s_cmp_lt_i32 s33, 26
	s_mov_b32 s3, 0
	scratch_store_dword off, v2, off offset:160
	s_cbranch_scc1 .LBB34_54
; %bb.53:
	s_lshl_b64 s[10:11], s[6:7], 1
	s_add_u32 s10, s22, s10
	s_addc_u32 s11, s23, s11
	v_mov_b32_e32 v1, 0
	global_load_ushort v1, v1, s[10:11] offset:50
	s_add_u32 s10, s20, s8
	s_addc_u32 s11, s21, s9
	s_load_dword s3, s[10:11], 0x64
.LBB34_54:
	s_waitcnt vmcnt(0)
	scratch_store_short off, v1, off offset:50
	s_waitcnt lgkmcnt(0)
	v_mov_b32_e32 v1, s3
	scratch_store_dword off, v1, off offset:164
	s_cmp_lt_i32 s33, 27
	v_mov_b32_e32 v1, 0
	v_mov_b32_e32 v2, 0
	s_cbranch_scc1 .LBB34_56
; %bb.55:
	s_lshl_b64 s[2:3], s[6:7], 1
	s_add_u32 s2, s22, s2
	s_addc_u32 s3, s23, s3
	v_mov_b32_e32 v2, 0
	global_load_ushort v2, v2, s[2:3] offset:52
	s_add_u32 s2, s20, s8
	s_addc_u32 s3, s21, s9
	s_load_dword s2, s[2:3], 0x68
.LBB34_56:
	s_waitcnt vmcnt(0)
	scratch_store_short off, v2, off offset:52
	s_waitcnt lgkmcnt(0)
	v_mov_b32_e32 v2, s2
	s_mov_b32 s2, 0
	s_cmp_lt_i32 s33, 28
	s_mov_b32 s3, 0
	scratch_store_dword off, v2, off offset:168
	s_cbranch_scc1 .LBB34_58
; %bb.57:
	s_lshl_b64 s[10:11], s[6:7], 1
	s_add_u32 s10, s22, s10
	s_addc_u32 s11, s23, s11
	v_mov_b32_e32 v1, 0
	global_load_ushort v1, v1, s[10:11] offset:54
	s_add_u32 s10, s20, s8
	s_addc_u32 s11, s21, s9
	s_load_dword s3, s[10:11], 0x6c
.LBB34_58:
	s_waitcnt vmcnt(0)
	scratch_store_short off, v1, off offset:54
	s_waitcnt lgkmcnt(0)
	v_mov_b32_e32 v1, s3
	scratch_store_dword off, v1, off offset:172
	s_cmp_lt_i32 s33, 29
	v_mov_b32_e32 v1, 0
	v_mov_b32_e32 v2, 0
	s_cbranch_scc1 .LBB34_60
; %bb.59:
	s_lshl_b64 s[2:3], s[6:7], 1
	s_add_u32 s2, s22, s2
	s_addc_u32 s3, s23, s3
	v_mov_b32_e32 v2, 0
	global_load_ushort v2, v2, s[2:3] offset:56
	s_add_u32 s2, s20, s8
	s_addc_u32 s3, s21, s9
	s_load_dword s2, s[2:3], 0x70
.LBB34_60:
	s_waitcnt vmcnt(0)
	scratch_store_short off, v2, off offset:56
	s_waitcnt lgkmcnt(0)
	v_mov_b32_e32 v2, s2
	s_mov_b32 s2, 0
	s_cmp_lt_i32 s33, 30
	s_mov_b32 s3, 0
	scratch_store_dword off, v2, off offset:176
	s_cbranch_scc1 .LBB34_62
; %bb.61:
	s_lshl_b64 s[10:11], s[6:7], 1
	s_add_u32 s10, s22, s10
	s_addc_u32 s11, s23, s11
	v_mov_b32_e32 v1, 0
	global_load_ushort v1, v1, s[10:11] offset:58
	s_add_u32 s10, s20, s8
	s_addc_u32 s11, s21, s9
	s_load_dword s3, s[10:11], 0x74
.LBB34_62:
	s_waitcnt vmcnt(0)
	scratch_store_short off, v1, off offset:58
	s_waitcnt lgkmcnt(0)
	v_mov_b32_e32 v1, s3
	scratch_store_dword off, v1, off offset:180
	s_cmp_lt_i32 s33, 31
	v_mov_b32_e32 v1, 0
	v_mov_b32_e32 v2, 0
	s_cbranch_scc1 .LBB34_64
; %bb.63:
	s_lshl_b64 s[2:3], s[6:7], 1
	s_add_u32 s2, s22, s2
	s_addc_u32 s3, s23, s3
	v_mov_b32_e32 v2, 0
	global_load_ushort v2, v2, s[2:3] offset:60
	s_add_u32 s2, s20, s8
	s_addc_u32 s3, s21, s9
	s_load_dword s2, s[2:3], 0x78
.LBB34_64:
	s_waitcnt vmcnt(0)
	scratch_store_short off, v2, off offset:60
	s_waitcnt lgkmcnt(0)
	v_mov_b32_e32 v2, s2
	s_cmp_lt_i32 s33, 32
	s_mov_b32 s2, 0
	scratch_store_dword off, v2, off offset:184
	s_cbranch_scc1 .LBB34_66
; %bb.65:
	s_lshl_b64 s[2:3], s[6:7], 1
	s_add_u32 s2, s22, s2
	s_addc_u32 s3, s23, s3
	v_mov_b32_e32 v1, 0
	global_load_ushort v1, v1, s[2:3] offset:62
	s_add_u32 s2, s20, s8
	s_addc_u32 s3, s21, s9
	s_load_dword s2, s[2:3], 0x7c
.LBB34_66:
	s_nop 0
	s_load_dword s52, s[0:1], 0x54
	v_lshlrev_b32_e32 v2, 3, v0
	s_waitcnt vmcnt(0)
	scratch_store_short off, v1, off offset:62
	s_waitcnt lgkmcnt(0)
	v_mov_b32_e32 v1, s2
	scratch_store_dword off, v1, off offset:188
	v_and_b32_e32 v1, 0x1e00, v2
	v_cmp_gt_i32_e32 vcc, s52, v1
	s_and_saveexec_b64 s[2:3], vcc
	s_cbranch_execz .LBB34_169
; %bb.67:
	s_load_dwordx2 s[2:3], s[0:1], 0x40
	s_load_dword s6, s[0:1], 0x64
	v_and_b32_e32 v10, 0x1f8, v2
	v_or_b32_e32 v2, v1, v10
	v_lshlrev_b32_e32 v11, 1, v2
	s_waitcnt lgkmcnt(0)
	s_cmp_lg_u64 s[2:3], 0
	s_cselect_b64 s[0:1], -1, 0
	s_and_b32 s54, s6, 0xffff
	s_lshl_b32 s55, s54, 3
	s_add_u32 s30, s26, 2
	s_addc_u32 s31, s27, 0
	s_add_u32 s34, s26, 4
	s_addc_u32 s35, s27, 0
	s_add_u32 s36, s26, 6
	s_addc_u32 s37, s27, 0
	s_add_u32 s38, s26, 8
	s_addc_u32 s39, s27, 0
	s_add_u32 s40, s26, 10
	s_addc_u32 s41, s27, 0
	s_add_u32 s42, s26, 12
	s_addc_u32 s43, s27, 0
	v_add_lshl_u32 v2, v0, v1, 2
	v_mov_b32_e32 v3, 0
	s_add_u32 s44, s26, 14
	v_lshl_add_u64 v[4:5], s[2:3], 0, v[2:3]
	v_cndmask_b32_e64 v2, 0, 1, s[0:1]
	v_cndmask_b32_e64 v6, 0, 1, s[4:5]
	s_mov_b64 s[28:29], 0
	s_mul_i32 s53, s53, s52
	s_addc_u32 s45, s27, 0
	v_lshlrev_b32_e32 v12, 1, v0
	s_lshl_b32 s56, s54, 1
	s_mov_b32 s47, 0
	s_lshl_b32 s46, s54, 2
	s_movk_i32 s57, 0x7ff
	s_mov_b32 s58, 0x42fe0000
	v_cmp_ne_u32_e64 s[0:1], 1, v2
	v_cmp_ne_u32_e64 s[2:3], 1, v6
	v_mov_b32_e32 v13, v1
	s_branch .LBB34_69
.LBB34_68:                              ;   in Loop: Header=BB34_69 Depth=1
	s_or_b64 exec, exec, s[4:5]
	v_add_u32_e32 v13, s55, v13
	v_cmp_le_i32_e32 vcc, s52, v13
	s_or_b64 s[28:29], vcc, s[28:29]
	s_andn2_b64 exec, exec, s[28:29]
	s_cbranch_execz .LBB34_169
.LBB34_69:                              ; =>This Loop Header: Depth=1
                                        ;     Child Loop BB34_72 Depth 2
                                        ;     Child Loop BB34_82 Depth 2
	s_and_b64 vcc, exec, s[0:1]
	s_cbranch_vccnz .LBB34_75
; %bb.70:                               ;   in Loop: Header=BB34_69 Depth=1
	s_mov_b64 s[4:5], 0
	v_mov_b64_e32 v[6:7], v[4:5]
	v_mov_b32_e32 v2, v12
	v_mov_b32_e32 v8, v0
	s_branch .LBB34_72
.LBB34_71:                              ;   in Loop: Header=BB34_72 Depth=2
	s_or_b64 exec, exec, s[6:7]
	v_add_u32_e32 v8, s54, v8
	v_cmp_lt_u32_e32 vcc, s57, v8
	v_add_u32_e32 v2, s56, v2
	s_or_b64 s[4:5], vcc, s[4:5]
	v_lshl_add_u64 v[6:7], v[6:7], 0, s[46:47]
	s_andn2_b64 exec, exec, s[4:5]
	s_cbranch_execz .LBB34_74
.LBB34_72:                              ;   Parent Loop BB34_69 Depth=1
                                        ; =>  This Inner Loop Header: Depth=2
	v_add_u32_e32 v9, v1, v8
	v_cmp_gt_i32_e32 vcc, s52, v9
	s_and_saveexec_b64 s[6:7], vcc
	s_cbranch_execz .LBB34_71
; %bb.73:                               ;   in Loop: Header=BB34_72 Depth=2
	global_load_dword v9, v[6:7], off
	s_waitcnt vmcnt(0)
	v_cvt_f16_f32_e32 v9, v9
	ds_write_b16 v2, v9
	s_branch .LBB34_71
.LBB34_74:                              ;   in Loop: Header=BB34_69 Depth=1
	s_or_b64 exec, exec, s[4:5]
	s_waitcnt lgkmcnt(0)
	s_barrier
.LBB34_75:                              ;   in Loop: Header=BB34_69 Depth=1
	s_and_b64 vcc, exec, s[2:3]
	v_add_u32_e32 v2, v13, v10
	s_cbranch_vccnz .LBB34_77
; %bb.76:                               ;   in Loop: Header=BB34_69 Depth=1
	v_add_u32_e32 v16, 8, v2
	s_mov_b64 s[4:5], 0
	s_mov_b32 s6, 0
	s_branch .LBB34_78
.LBB34_77:                              ;   in Loop: Header=BB34_69 Depth=1
	s_mov_b64 s[4:5], -1
                                        ; implicit-def: $sgpr6
                                        ; implicit-def: $vgpr16
.LBB34_78:                              ;   in Loop: Header=BB34_69 Depth=1
	s_andn2_b64 vcc, exec, s[4:5]
	v_mov_b32_e32 v14, s6
	v_mov_b32_e32 v15, s6
	;; [unrolled: 1-line block ×8, first 2 shown]
	s_cbranch_vccnz .LBB34_149
; %bb.79:                               ;   in Loop: Header=BB34_69 Depth=1
	v_or_b32_e32 v6, 1, v2
	v_cmp_gt_i32_e64 s[8:9], s52, v6
	v_or_b32_e32 v6, 2, v2
	v_cmp_gt_i32_e64 s[10:11], s52, v6
	;; [unrolled: 2-line block ×5, first 2 shown]
	v_or_b32_e32 v6, 6, v2
	v_add_u32_e32 v16, 8, v2
	v_cmp_gt_i32_e64 s[18:19], s52, v6
	v_or_b32_e32 v6, 7, v2
	v_cmp_gt_i32_e64 s[4:5], s52, v2
	v_cmp_le_i32_e64 s[6:7], s52, v16
	v_cmp_gt_i32_e64 s[20:21], s52, v6
	v_mov_b32_e32 v17, 64
	v_mov_b32_e32 v18, 0
	;; [unrolled: 1-line block ×3, first 2 shown]
	s_mov_b32 s59, s33
	v_mov_b32_e32 v26, 0
	v_mov_b32_e32 v24, 0
	;; [unrolled: 1-line block ×7, first 2 shown]
	s_branch .LBB34_82
.LBB34_80:                              ;   in Loop: Header=BB34_82 Depth=2
	v_mov_b32_e32 v14, v15
	v_mov_b32_e32 v15, v19
	v_mov_b32_e32 v19, v8
	v_mov_b32_e32 v20, v6
	v_mov_b32_e32 v21, v9
	v_mov_b32_e32 v24, v26
	v_mov_b32_e32 v26, v25
	v_mov_b32_e32 v25, v23
.LBB34_81:                              ;   in Loop: Header=BB34_82 Depth=2
	s_or_b64 exec, exec, s[48:49]
	s_add_i32 s59, s59, -1
	v_add_u32_e32 v17, 4, v17
	s_cmp_eq_u32 s59, 0
	v_add_u32_e32 v18, 2, v18
	s_cbranch_scc1 .LBB34_149
.LBB34_82:                              ;   Parent Loop BB34_69 Depth=1
                                        ; =>  This Inner Loop Header: Depth=2
	s_and_saveexec_b64 s[48:49], s[4:5]
	s_cbranch_execz .LBB34_81
; %bb.83:                               ;   in Loop: Header=BB34_82 Depth=2
	scratch_load_dword v6, v17, off
	s_waitcnt vmcnt(0)
	v_mad_u64_u32 v[8:9], s[22:23], v6, s52, v[2:3]
                                        ; implicit-def: $vgpr6_vgpr7
	s_and_saveexec_b64 s[22:23], s[6:7]
	s_xor_b64 s[22:23], exec, s[22:23]
	s_cbranch_execnz .LBB34_124
; %bb.84:                               ;   in Loop: Header=BB34_82 Depth=2
	s_andn2_saveexec_b64 s[22:23], s[22:23]
	s_cbranch_execnz .LBB34_137
.LBB34_85:                              ;   in Loop: Header=BB34_82 Depth=2
	s_or_b64 exec, exec, s[22:23]
	s_and_b64 vcc, exec, s[0:1]
	s_cbranch_vccnz .LBB34_138
.LBB34_86:                              ;   in Loop: Header=BB34_82 Depth=2
	scratch_load_ushort v22, v18, off
	s_waitcnt vmcnt(1)
	v_cmp_ne_u16_sdwa s[22:23], v6, v3 src0_sel:BYTE_0 src1_sel:DWORD
	v_mov_b32_e32 v23, v25
	s_waitcnt vmcnt(0)
	v_cmp_neq_f16_e32 vcc, 0, v22
	s_and_b64 s[50:51], s[22:23], vcc
	s_and_saveexec_b64 s[22:23], s[50:51]
	s_cbranch_execz .LBB34_88
; %bb.87:                               ;   in Loop: Header=BB34_82 Depth=2
	ds_read_u16 v8, v11
	v_bfe_i32 v9, v6, 0, 8
	v_cvt_f32_i32_sdwa v9, sext(v9) dst_sel:DWORD dst_unused:UNUSED_PAD src0_sel:WORD_0
	s_waitcnt lgkmcnt(0)
	v_cvt_f32_f16_e32 v8, v8
	v_div_scale_f32 v23, s[50:51], s58, s58, v8
	v_rcp_f32_e32 v27, v23
	v_div_scale_f32 v28, vcc, v8, s58, v8
	v_fma_f32 v29, -v23, v27, 1.0
	v_fmac_f32_e32 v27, v29, v27
	v_mul_f32_e32 v29, v28, v27
	v_fma_f32 v30, -v23, v29, v28
	v_fmac_f32_e32 v29, v30, v27
	v_fma_f32 v23, -v23, v29, v28
	v_div_fmas_f32 v23, v23, v27, v29
	v_div_fixup_f32 v8, v23, s58, v8
	v_mul_f32_e32 v8, v8, v9
	v_fma_mixlo_f16 v23, v8, v22, v25 op_sel_hi:[0,1,1]
.LBB34_88:                              ;   in Loop: Header=BB34_82 Depth=2
	s_or_b64 exec, exec, s[22:23]
	s_cbranch_execnz .LBB34_90
.LBB34_89:                              ;   in Loop: Header=BB34_82 Depth=2
	scratch_load_ushort v22, v18, off
	s_waitcnt vmcnt(1)
	v_bfe_i32 v8, v6, 0, 8
	v_cvt_f32_i32_sdwa v8, sext(v8) dst_sel:DWORD dst_unused:UNUSED_PAD src0_sel:WORD_0
	s_waitcnt vmcnt(0)
	v_fma_mixlo_f16 v23, v8, v22, v25 op_sel_hi:[0,1,1]
.LBB34_90:                              ;   in Loop: Header=BB34_82 Depth=2
	s_and_b64 vcc, exec, s[0:1]
	v_cmp_neq_f16_e64 s[22:23], 0, v22
	s_waitcnt vmcnt(0)
	v_lshrrev_b32_e32 v8, 8, v6
	s_cbranch_vccnz .LBB34_139
; %bb.91:                               ;   in Loop: Header=BB34_82 Depth=2
	v_cmp_ne_u16_sdwa s[50:51], v8, v3 src0_sel:BYTE_0 src1_sel:DWORD
	s_and_b64 s[50:51], s[50:51], s[22:23]
	v_mov_b32_e32 v25, v26
	s_and_saveexec_b64 s[22:23], s[50:51]
	s_cbranch_execz .LBB34_93
; %bb.92:                               ;   in Loop: Header=BB34_82 Depth=2
	ds_read_u16 v9, v11 offset:2
	v_bfe_i32 v25, v8, 0, 8
	v_cvt_f32_i32_sdwa v25, sext(v25) dst_sel:DWORD dst_unused:UNUSED_PAD src0_sel:WORD_0
	s_waitcnt lgkmcnt(0)
	v_cvt_f32_f16_e32 v9, v9
	v_div_scale_f32 v27, s[50:51], s58, s58, v9
	v_rcp_f32_e32 v28, v27
	v_div_scale_f32 v29, vcc, v9, s58, v9
	v_fma_f32 v30, -v27, v28, 1.0
	v_fmac_f32_e32 v28, v30, v28
	v_mul_f32_e32 v30, v29, v28
	v_fma_f32 v31, -v27, v30, v29
	v_fmac_f32_e32 v30, v31, v28
	v_fma_f32 v27, -v27, v30, v29
	v_div_fmas_f32 v27, v27, v28, v30
	v_div_fixup_f32 v9, v27, s58, v9
	v_mul_f32_e32 v9, v9, v25
	v_fma_mixlo_f16 v25, v9, v22, v26 op_sel_hi:[0,1,1]
.LBB34_93:                              ;   in Loop: Header=BB34_82 Depth=2
	s_or_b64 exec, exec, s[22:23]
	s_cbranch_execnz .LBB34_95
.LBB34_94:                              ;   in Loop: Header=BB34_82 Depth=2
	v_bfe_i32 v8, v8, 0, 8
	v_cvt_f32_i32_sdwa v8, sext(v8) dst_sel:DWORD dst_unused:UNUSED_PAD src0_sel:WORD_0
	v_fma_mixlo_f16 v25, v8, v22, v26 op_sel_hi:[0,1,1]
.LBB34_95:                              ;   in Loop: Header=BB34_82 Depth=2
	s_and_b64 vcc, exec, s[0:1]
	v_lshrrev_b32_e32 v8, 16, v6
	s_cbranch_vccnz .LBB34_140
; %bb.96:                               ;   in Loop: Header=BB34_82 Depth=2
	v_cmp_ne_u16_sdwa s[22:23], v8, v3 src0_sel:BYTE_0 src1_sel:DWORD
	v_cmp_neq_f16_e32 vcc, 0, v22
	s_and_b64 s[50:51], s[22:23], vcc
	v_mov_b32_e32 v26, v24
	s_and_saveexec_b64 s[22:23], s[50:51]
	s_cbranch_execz .LBB34_98
; %bb.97:                               ;   in Loop: Header=BB34_82 Depth=2
	ds_read_u16 v9, v11 offset:4
	v_bfe_i32 v26, v8, 0, 8
	v_cvt_f32_i32_sdwa v26, sext(v26) dst_sel:DWORD dst_unused:UNUSED_PAD src0_sel:WORD_0
	s_waitcnt lgkmcnt(0)
	v_cvt_f32_f16_e32 v9, v9
	v_div_scale_f32 v27, s[50:51], s58, s58, v9
	v_rcp_f32_e32 v28, v27
	v_div_scale_f32 v29, vcc, v9, s58, v9
	v_fma_f32 v30, -v27, v28, 1.0
	v_fmac_f32_e32 v28, v30, v28
	v_mul_f32_e32 v30, v29, v28
	v_fma_f32 v31, -v27, v30, v29
	v_fmac_f32_e32 v30, v31, v28
	v_fma_f32 v27, -v27, v30, v29
	v_div_fmas_f32 v27, v27, v28, v30
	v_div_fixup_f32 v9, v27, s58, v9
	v_mul_f32_e32 v9, v9, v26
	v_fma_mixlo_f16 v26, v9, v22, v24 op_sel_hi:[0,1,1]
.LBB34_98:                              ;   in Loop: Header=BB34_82 Depth=2
	s_or_b64 exec, exec, s[22:23]
	s_cbranch_execnz .LBB34_100
.LBB34_99:                              ;   in Loop: Header=BB34_82 Depth=2
	v_bfe_i32 v8, v8, 0, 8
	v_cvt_f32_i32_sdwa v8, sext(v8) dst_sel:DWORD dst_unused:UNUSED_PAD src0_sel:WORD_0
	v_fma_mixlo_f16 v26, v8, v22, v24 op_sel_hi:[0,1,1]
.LBB34_100:                             ;   in Loop: Header=BB34_82 Depth=2
	s_and_b64 vcc, exec, s[0:1]
	s_cbranch_vccnz .LBB34_141
; %bb.101:                              ;   in Loop: Header=BB34_82 Depth=2
	v_lshrrev_b64 v[8:9], 24, v[6:7]
	v_cmp_ne_u16_sdwa s[22:23], v8, v3 src0_sel:BYTE_0 src1_sel:DWORD
	v_cmp_neq_f16_e32 vcc, 0, v22
	s_and_b64 s[50:51], s[22:23], vcc
	v_mov_b32_e32 v9, v21
	s_and_saveexec_b64 s[22:23], s[50:51]
	s_cbranch_execz .LBB34_103
; %bb.102:                              ;   in Loop: Header=BB34_82 Depth=2
	ds_read_u16 v9, v11 offset:6
	v_bfe_i32 v8, v8, 0, 8
	v_cvt_f32_i32_sdwa v8, sext(v8) dst_sel:DWORD dst_unused:UNUSED_PAD src0_sel:WORD_0
	s_waitcnt lgkmcnt(0)
	v_cvt_f32_f16_e32 v9, v9
	v_div_scale_f32 v24, s[50:51], s58, s58, v9
	v_rcp_f32_e32 v27, v24
	v_div_scale_f32 v28, vcc, v9, s58, v9
	v_fma_f32 v29, -v24, v27, 1.0
	v_fmac_f32_e32 v27, v29, v27
	v_mul_f32_e32 v29, v28, v27
	v_fma_f32 v30, -v24, v29, v28
	v_fmac_f32_e32 v29, v30, v27
	v_fma_f32 v24, -v24, v29, v28
	v_div_fmas_f32 v24, v24, v27, v29
	v_div_fixup_f32 v9, v24, s58, v9
	v_mul_f32_e32 v8, v9, v8
	v_fma_mixlo_f16 v9, v8, v22, v21 op_sel_hi:[0,1,1]
.LBB34_103:                             ;   in Loop: Header=BB34_82 Depth=2
	s_or_b64 exec, exec, s[22:23]
	s_cbranch_execnz .LBB34_105
.LBB34_104:                             ;   in Loop: Header=BB34_82 Depth=2
	v_lshrrev_b32_e32 v6, 24, v6
	v_bfe_i32 v6, v6, 0, 8
	v_cvt_f32_i32_sdwa v6, sext(v6) dst_sel:DWORD dst_unused:UNUSED_PAD src0_sel:WORD_0
	v_fma_mixlo_f16 v9, v6, v22, v21 op_sel_hi:[0,1,1]
.LBB34_105:                             ;   in Loop: Header=BB34_82 Depth=2
	s_and_b64 vcc, exec, s[0:1]
	s_cbranch_vccnz .LBB34_142
; %bb.106:                              ;   in Loop: Header=BB34_82 Depth=2
	v_cmp_ne_u16_sdwa s[22:23], v7, v3 src0_sel:BYTE_0 src1_sel:DWORD
	v_cmp_neq_f16_e32 vcc, 0, v22
	s_and_b64 s[50:51], s[22:23], vcc
	v_mov_b32_e32 v6, v20
	s_and_saveexec_b64 s[22:23], s[50:51]
	s_cbranch_execz .LBB34_108
; %bb.107:                              ;   in Loop: Header=BB34_82 Depth=2
	ds_read_u16 v6, v11 offset:8
	v_bfe_i32 v8, v7, 0, 8
	v_cvt_f32_i32_sdwa v8, sext(v8) dst_sel:DWORD dst_unused:UNUSED_PAD src0_sel:WORD_0
	s_waitcnt lgkmcnt(0)
	v_cvt_f32_f16_e32 v6, v6
	v_div_scale_f32 v21, s[50:51], s58, s58, v6
	v_rcp_f32_e32 v24, v21
	v_div_scale_f32 v27, vcc, v6, s58, v6
	v_fma_f32 v28, -v21, v24, 1.0
	v_fmac_f32_e32 v24, v28, v24
	v_mul_f32_e32 v28, v27, v24
	v_fma_f32 v29, -v21, v28, v27
	v_fmac_f32_e32 v28, v29, v24
	v_fma_f32 v21, -v21, v28, v27
	v_div_fmas_f32 v21, v21, v24, v28
	v_div_fixup_f32 v6, v21, s58, v6
	v_mul_f32_e32 v6, v6, v8
	v_fma_mixlo_f16 v6, v6, v22, v20 op_sel_hi:[0,1,1]
.LBB34_108:                             ;   in Loop: Header=BB34_82 Depth=2
	s_or_b64 exec, exec, s[22:23]
	s_cbranch_execnz .LBB34_110
.LBB34_109:                             ;   in Loop: Header=BB34_82 Depth=2
	v_bfe_i32 v6, v7, 0, 8
	v_cvt_f32_i32_sdwa v6, sext(v6) dst_sel:DWORD dst_unused:UNUSED_PAD src0_sel:WORD_0
	v_fma_mixlo_f16 v6, v6, v22, v20 op_sel_hi:[0,1,1]
.LBB34_110:                             ;   in Loop: Header=BB34_82 Depth=2
	s_and_b64 vcc, exec, s[0:1]
	v_lshrrev_b32_e32 v20, 8, v7
	s_cbranch_vccnz .LBB34_143
; %bb.111:                              ;   in Loop: Header=BB34_82 Depth=2
	v_cmp_ne_u16_sdwa s[22:23], v20, v3 src0_sel:BYTE_0 src1_sel:DWORD
	v_cmp_neq_f16_e32 vcc, 0, v22
	s_and_b64 s[50:51], s[22:23], vcc
	v_mov_b32_e32 v8, v19
	s_and_saveexec_b64 s[22:23], s[50:51]
	s_cbranch_execz .LBB34_113
; %bb.112:                              ;   in Loop: Header=BB34_82 Depth=2
	ds_read_u16 v8, v11 offset:10
	v_bfe_i32 v21, v20, 0, 8
	v_cvt_f32_i32_sdwa v21, sext(v21) dst_sel:DWORD dst_unused:UNUSED_PAD src0_sel:WORD_0
	s_waitcnt lgkmcnt(0)
	v_cvt_f32_f16_e32 v8, v8
	v_div_scale_f32 v24, s[50:51], s58, s58, v8
	v_rcp_f32_e32 v27, v24
	v_div_scale_f32 v28, vcc, v8, s58, v8
	v_fma_f32 v29, -v24, v27, 1.0
	v_fmac_f32_e32 v27, v29, v27
	v_mul_f32_e32 v29, v28, v27
	v_fma_f32 v30, -v24, v29, v28
	v_fmac_f32_e32 v29, v30, v27
	v_fma_f32 v24, -v24, v29, v28
	v_div_fmas_f32 v24, v24, v27, v29
	v_div_fixup_f32 v8, v24, s58, v8
	v_mul_f32_e32 v8, v8, v21
	v_fma_mixlo_f16 v8, v8, v22, v19 op_sel_hi:[0,1,1]
.LBB34_113:                             ;   in Loop: Header=BB34_82 Depth=2
	s_or_b64 exec, exec, s[22:23]
	s_cbranch_execnz .LBB34_115
.LBB34_114:                             ;   in Loop: Header=BB34_82 Depth=2
	v_bfe_i32 v8, v20, 0, 8
	v_cvt_f32_i32_sdwa v8, sext(v8) dst_sel:DWORD dst_unused:UNUSED_PAD src0_sel:WORD_0
	v_fma_mixlo_f16 v8, v8, v22, v19 op_sel_hi:[0,1,1]
.LBB34_115:                             ;   in Loop: Header=BB34_82 Depth=2
	s_and_b64 vcc, exec, s[0:1]
	v_lshrrev_b32_e32 v20, 16, v7
	s_cbranch_vccnz .LBB34_144
; %bb.116:                              ;   in Loop: Header=BB34_82 Depth=2
	v_cmp_ne_u16_sdwa s[22:23], v20, v3 src0_sel:BYTE_0 src1_sel:DWORD
	v_cmp_neq_f16_e32 vcc, 0, v22
	s_and_b64 s[50:51], s[22:23], vcc
	v_mov_b32_e32 v19, v15
	s_and_saveexec_b64 s[22:23], s[50:51]
	s_cbranch_execz .LBB34_118
; %bb.117:                              ;   in Loop: Header=BB34_82 Depth=2
	ds_read_u16 v19, v11 offset:12
	v_bfe_i32 v21, v20, 0, 8
	v_cvt_f32_i32_sdwa v21, sext(v21) dst_sel:DWORD dst_unused:UNUSED_PAD src0_sel:WORD_0
	s_waitcnt lgkmcnt(0)
	v_cvt_f32_f16_e32 v19, v19
	v_div_scale_f32 v24, s[50:51], s58, s58, v19
	v_rcp_f32_e32 v27, v24
	v_div_scale_f32 v28, vcc, v19, s58, v19
	v_fma_f32 v29, -v24, v27, 1.0
	v_fmac_f32_e32 v27, v29, v27
	v_mul_f32_e32 v29, v28, v27
	v_fma_f32 v30, -v24, v29, v28
	v_fmac_f32_e32 v29, v30, v27
	v_fma_f32 v24, -v24, v29, v28
	v_div_fmas_f32 v24, v24, v27, v29
	v_div_fixup_f32 v19, v24, s58, v19
	v_mul_f32_e32 v19, v19, v21
	v_fma_mixlo_f16 v19, v19, v22, v15 op_sel_hi:[0,1,1]
.LBB34_118:                             ;   in Loop: Header=BB34_82 Depth=2
	s_or_b64 exec, exec, s[22:23]
	s_cbranch_execnz .LBB34_120
.LBB34_119:                             ;   in Loop: Header=BB34_82 Depth=2
	v_bfe_i32 v19, v20, 0, 8
	v_cvt_f32_i32_sdwa v19, sext(v19) dst_sel:DWORD dst_unused:UNUSED_PAD src0_sel:WORD_0
	v_fma_mixlo_f16 v19, v19, v22, v15 op_sel_hi:[0,1,1]
.LBB34_120:                             ;   in Loop: Header=BB34_82 Depth=2
	s_and_b64 vcc, exec, s[0:1]
	v_lshrrev_b32_e32 v7, 24, v7
	s_cbranch_vccnz .LBB34_145
; %bb.121:                              ;   in Loop: Header=BB34_82 Depth=2
	v_cmp_ne_u16_e32 vcc, 0, v7
	v_cmp_neq_f16_e64 s[22:23], 0, v22
	s_and_b64 s[50:51], vcc, s[22:23]
	v_mov_b32_e32 v15, v14
	s_and_saveexec_b64 s[22:23], s[50:51]
	s_cbranch_execz .LBB34_123
; %bb.122:                              ;   in Loop: Header=BB34_82 Depth=2
	ds_read_u16 v15, v11 offset:14
	v_bfe_i32 v20, v7, 0, 8
	v_cvt_f32_i32_sdwa v20, sext(v20) dst_sel:DWORD dst_unused:UNUSED_PAD src0_sel:WORD_0
	s_waitcnt lgkmcnt(0)
	v_cvt_f32_f16_e32 v15, v15
	v_div_scale_f32 v21, s[50:51], s58, s58, v15
	v_rcp_f32_e32 v24, v21
	v_div_scale_f32 v27, vcc, v15, s58, v15
	v_fma_f32 v28, -v21, v24, 1.0
	v_fmac_f32_e32 v24, v28, v24
	v_mul_f32_e32 v28, v27, v24
	v_fma_f32 v29, -v21, v28, v27
	v_fmac_f32_e32 v28, v29, v24
	v_fma_f32 v21, -v21, v28, v27
	v_div_fmas_f32 v21, v21, v24, v28
	v_div_fixup_f32 v15, v21, s58, v15
	v_mul_f32_e32 v15, v15, v20
	v_fma_mixlo_f16 v15, v15, v22, v14 op_sel_hi:[0,1,1]
.LBB34_123:                             ;   in Loop: Header=BB34_82 Depth=2
	s_or_b64 exec, exec, s[22:23]
	s_cbranch_execnz .LBB34_80
	s_branch .LBB34_146
.LBB34_124:                             ;   in Loop: Header=BB34_82 Depth=2
	v_ashrrev_i32_e32 v9, 31, v8
	v_lshl_add_u64 v[6:7], s[24:25], 0, v[8:9]
	global_load_ubyte v8, v[6:7], off
	v_mov_b32_e32 v9, 0
	v_mov_b32_e32 v22, 0
	s_and_saveexec_b64 s[50:51], s[8:9]
	s_cbranch_execz .LBB34_126
; %bb.125:                              ;   in Loop: Header=BB34_82 Depth=2
	global_load_ubyte v22, v[6:7], off offset:1
.LBB34_126:                             ;   in Loop: Header=BB34_82 Depth=2
	s_or_b64 exec, exec, s[50:51]
	s_and_saveexec_b64 s[50:51], s[10:11]
	s_cbranch_execz .LBB34_128
; %bb.127:                              ;   in Loop: Header=BB34_82 Depth=2
	global_load_ubyte v9, v[6:7], off offset:2
.LBB34_128:                             ;   in Loop: Header=BB34_82 Depth=2
	s_or_b64 exec, exec, s[50:51]
	v_mov_b32_e32 v27, 0
	v_mov_b32_e32 v23, 0
	s_and_saveexec_b64 s[50:51], s[12:13]
	s_cbranch_execz .LBB34_130
; %bb.129:                              ;   in Loop: Header=BB34_82 Depth=2
	global_load_ubyte v23, v[6:7], off offset:3
.LBB34_130:                             ;   in Loop: Header=BB34_82 Depth=2
	s_or_b64 exec, exec, s[50:51]
	s_and_saveexec_b64 s[50:51], s[14:15]
	s_cbranch_execz .LBB34_132
; %bb.131:                              ;   in Loop: Header=BB34_82 Depth=2
	global_load_ubyte v27, v[6:7], off offset:4
.LBB34_132:                             ;   in Loop: Header=BB34_82 Depth=2
	s_or_b64 exec, exec, s[50:51]
	v_mov_b32_e32 v28, 0
	v_mov_b32_e32 v29, 0
	s_and_saveexec_b64 s[50:51], s[16:17]
	s_cbranch_execnz .LBB34_147
; %bb.133:                              ;   in Loop: Header=BB34_82 Depth=2
	s_or_b64 exec, exec, s[50:51]
	s_and_saveexec_b64 s[50:51], s[18:19]
	s_cbranch_execnz .LBB34_148
.LBB34_134:                             ;   in Loop: Header=BB34_82 Depth=2
	s_or_b64 exec, exec, s[50:51]
	v_mov_b32_e32 v30, 0
	s_and_saveexec_b64 s[50:51], s[20:21]
	s_cbranch_execz .LBB34_136
.LBB34_135:                             ;   in Loop: Header=BB34_82 Depth=2
	global_load_ubyte v30, v[6:7], off offset:7
.LBB34_136:                             ;   in Loop: Header=BB34_82 Depth=2
	s_or_b64 exec, exec, s[50:51]
	s_waitcnt vmcnt(0)
	v_lshlrev_b16_e32 v6, 8, v29
	v_lshlrev_b16_e32 v7, 8, v30
	v_or_b32_sdwa v6, v27, v6 dst_sel:DWORD dst_unused:UNUSED_PAD src0_sel:BYTE_0 src1_sel:DWORD
	v_or_b32_sdwa v7, v28, v7 dst_sel:WORD_1 dst_unused:UNUSED_PAD src0_sel:BYTE_0 src1_sel:DWORD
	s_nop 0
	v_or_b32_sdwa v7, v6, v7 dst_sel:DWORD dst_unused:UNUSED_PAD src0_sel:WORD_0 src1_sel:DWORD
	v_lshlrev_b16_e32 v6, 8, v22
	v_or_b32_sdwa v6, v8, v6 dst_sel:DWORD dst_unused:UNUSED_PAD src0_sel:BYTE_0 src1_sel:DWORD
	v_lshlrev_b16_e32 v8, 8, v23
	v_or_b32_sdwa v8, v9, v8 dst_sel:WORD_1 dst_unused:UNUSED_PAD src0_sel:BYTE_0 src1_sel:DWORD
	s_nop 0
	v_or_b32_sdwa v6, v6, v8 dst_sel:DWORD dst_unused:UNUSED_PAD src0_sel:WORD_0 src1_sel:DWORD
                                        ; implicit-def: $vgpr8_vgpr9
	s_andn2_saveexec_b64 s[22:23], s[22:23]
	s_cbranch_execz .LBB34_85
.LBB34_137:                             ;   in Loop: Header=BB34_82 Depth=2
	v_ashrrev_i32_e32 v6, 31, v8
	v_lshrrev_b32_e32 v6, 29, v6
	v_add_u32_e32 v6, v8, v6
	v_ashrrev_i32_e32 v6, 3, v6
	v_ashrrev_i32_e32 v7, 31, v6
	v_lshl_add_u64 v[6:7], v[6:7], 3, s[24:25]
	global_load_dwordx2 v[6:7], v[6:7], off
	s_or_b64 exec, exec, s[22:23]
	s_and_b64 vcc, exec, s[0:1]
	s_cbranch_vccz .LBB34_86
.LBB34_138:                             ;   in Loop: Header=BB34_82 Depth=2
                                        ; implicit-def: $vgpr23
                                        ; implicit-def: $vgpr22
	s_branch .LBB34_89
.LBB34_139:                             ;   in Loop: Header=BB34_82 Depth=2
                                        ; implicit-def: $vgpr25
	s_branch .LBB34_94
.LBB34_140:                             ;   in Loop: Header=BB34_82 Depth=2
                                        ; implicit-def: $vgpr26
	s_branch .LBB34_99
.LBB34_141:                             ;   in Loop: Header=BB34_82 Depth=2
                                        ; implicit-def: $vgpr9
	s_branch .LBB34_104
.LBB34_142:                             ;   in Loop: Header=BB34_82 Depth=2
                                        ; implicit-def: $vgpr6
	s_branch .LBB34_109
.LBB34_143:                             ;   in Loop: Header=BB34_82 Depth=2
                                        ; implicit-def: $vgpr8
	s_branch .LBB34_114
.LBB34_144:                             ;   in Loop: Header=BB34_82 Depth=2
                                        ; implicit-def: $vgpr19
	s_branch .LBB34_119
.LBB34_145:                             ;   in Loop: Header=BB34_82 Depth=2
                                        ; implicit-def: $vgpr15
.LBB34_146:                             ;   in Loop: Header=BB34_82 Depth=2
	v_bfe_i32 v7, v7, 0, 8
	v_cvt_f32_i32_sdwa v7, sext(v7) dst_sel:DWORD dst_unused:UNUSED_PAD src0_sel:WORD_0
	v_fma_mixlo_f16 v15, v7, v22, v14 op_sel_hi:[0,1,1]
	s_branch .LBB34_80
.LBB34_147:                             ;   in Loop: Header=BB34_82 Depth=2
	global_load_ubyte v29, v[6:7], off offset:5
	s_or_b64 exec, exec, s[50:51]
	s_and_saveexec_b64 s[50:51], s[18:19]
	s_cbranch_execz .LBB34_134
.LBB34_148:                             ;   in Loop: Header=BB34_82 Depth=2
	global_load_ubyte v28, v[6:7], off offset:6
	s_or_b64 exec, exec, s[50:51]
	v_mov_b32_e32 v30, 0
	s_and_saveexec_b64 s[50:51], s[20:21]
	s_cbranch_execnz .LBB34_135
	s_branch .LBB34_136
.LBB34_149:                             ;   in Loop: Header=BB34_69 Depth=1
	v_add_u32_e32 v6, s53, v2
	v_cmp_le_i32_e32 vcc, s52, v16
	s_and_saveexec_b64 s[4:5], vcc
	s_xor_b64 s[4:5], exec, s[4:5]
	s_cbranch_execz .LBB34_167
; %bb.150:                              ;   in Loop: Header=BB34_69 Depth=1
	v_cmp_gt_i32_e32 vcc, s52, v2
	s_and_saveexec_b64 s[6:7], vcc
	s_cbranch_execz .LBB34_152
; %bb.151:                              ;   in Loop: Header=BB34_69 Depth=1
	v_ashrrev_i32_e32 v7, 31, v6
	v_lshl_add_u64 v[8:9], v[6:7], 1, s[26:27]
	global_load_ushort v7, v[8:9], off
	s_waitcnt vmcnt(0)
	v_add_f16_e32 v7, v7, v25
	global_store_short v[8:9], v7, off
.LBB34_152:                             ;   in Loop: Header=BB34_69 Depth=1
	s_or_b64 exec, exec, s[6:7]
	v_or_b32_e32 v7, 1, v2
	v_cmp_gt_i32_e32 vcc, s52, v7
	s_and_saveexec_b64 s[6:7], vcc
	s_cbranch_execz .LBB34_154
; %bb.153:                              ;   in Loop: Header=BB34_69 Depth=1
	v_ashrrev_i32_e32 v7, 31, v6
	v_lshl_add_u64 v[8:9], v[6:7], 1, s[30:31]
	global_load_ushort v7, v[8:9], off
	s_waitcnt vmcnt(0)
	v_add_f16_e32 v7, v7, v26
	global_store_short v[8:9], v7, off
.LBB34_154:                             ;   in Loop: Header=BB34_69 Depth=1
	s_or_b64 exec, exec, s[6:7]
	v_or_b32_e32 v7, 2, v2
	;; [unrolled: 13-line block ×7, first 2 shown]
	v_cmp_gt_i32_e32 vcc, s52, v2
	s_and_saveexec_b64 s[6:7], vcc
	s_cbranch_execz .LBB34_166
; %bb.165:                              ;   in Loop: Header=BB34_69 Depth=1
	v_ashrrev_i32_e32 v7, 31, v6
	v_lshl_add_u64 v[6:7], v[6:7], 1, s[44:45]
	global_load_ushort v2, v[6:7], off
	s_waitcnt vmcnt(0)
	v_add_f16_e32 v2, v2, v14
	global_store_short v[6:7], v2, off
.LBB34_166:                             ;   in Loop: Header=BB34_69 Depth=1
	s_or_b64 exec, exec, s[6:7]
                                        ; implicit-def: $vgpr6
                                        ; implicit-def: $vgpr14
                                        ; implicit-def: $vgpr15
                                        ; implicit-def: $vgpr19
                                        ; implicit-def: $vgpr20
                                        ; implicit-def: $vgpr21
                                        ; implicit-def: $vgpr24
                                        ; implicit-def: $vgpr26
                                        ; implicit-def: $vgpr25
.LBB34_167:                             ;   in Loop: Header=BB34_69 Depth=1
	s_andn2_saveexec_b64 s[4:5], s[4:5]
	s_cbranch_execz .LBB34_68
; %bb.168:                              ;   in Loop: Header=BB34_69 Depth=1
	v_ashrrev_i32_e32 v2, 31, v6
	v_lshrrev_b32_e32 v2, 29, v2
	v_add_u32_e32 v2, v6, v2
	v_ashrrev_i32_e32 v6, 3, v2
	v_ashrrev_i32_e32 v7, 31, v6
	v_lshl_add_u64 v[16:17], v[6:7], 4, s[26:27]
	global_load_dwordx4 v[6:9], v[16:17], off
	s_waitcnt vmcnt(0)
	v_add_f16_e32 v2, v25, v6
	v_add_f16_sdwa v6, v26, v6 dst_sel:DWORD dst_unused:UNUSED_PAD src0_sel:DWORD src1_sel:WORD_1
	v_add_f16_e32 v18, v24, v7
	v_add_f16_sdwa v7, v21, v7 dst_sel:DWORD dst_unused:UNUSED_PAD src0_sel:DWORD src1_sel:WORD_1
	;; [unrolled: 2-line block ×4, first 2 shown]
	v_pack_b32_f16 v9, v15, v9
	v_pack_b32_f16 v8, v20, v8
	;; [unrolled: 1-line block ×4, first 2 shown]
	global_store_dwordx4 v[16:17], v[6:9], off
	s_branch .LBB34_68
.LBB34_169:
	s_endpgm
	.section	.rodata,"a",@progbits
	.p2align	6, 0x0
	.amdhsa_kernel _Z27kspmm_coo_very_sparse_naiveIaLi8ELi8EEvPiS0_S0_S0_S0_P6__halfPT_S2_Pfiiii
		.amdhsa_group_segment_fixed_size 4096
		.amdhsa_private_segment_fixed_size 208
		.amdhsa_kernarg_size 344
		.amdhsa_user_sgpr_count 2
		.amdhsa_user_sgpr_dispatch_ptr 0
		.amdhsa_user_sgpr_queue_ptr 0
		.amdhsa_user_sgpr_kernarg_segment_ptr 1
		.amdhsa_user_sgpr_dispatch_id 0
		.amdhsa_user_sgpr_kernarg_preload_length 0
		.amdhsa_user_sgpr_kernarg_preload_offset 0
		.amdhsa_user_sgpr_private_segment_size 0
		.amdhsa_uses_dynamic_stack 0
		.amdhsa_enable_private_segment 1
		.amdhsa_system_sgpr_workgroup_id_x 1
		.amdhsa_system_sgpr_workgroup_id_y 0
		.amdhsa_system_sgpr_workgroup_id_z 0
		.amdhsa_system_sgpr_workgroup_info 0
		.amdhsa_system_vgpr_workitem_id 0
		.amdhsa_next_free_vgpr 32
		.amdhsa_next_free_sgpr 60
		.amdhsa_accum_offset 32
		.amdhsa_reserve_vcc 1
		.amdhsa_float_round_mode_32 0
		.amdhsa_float_round_mode_16_64 0
		.amdhsa_float_denorm_mode_32 3
		.amdhsa_float_denorm_mode_16_64 3
		.amdhsa_dx10_clamp 1
		.amdhsa_ieee_mode 1
		.amdhsa_fp16_overflow 0
		.amdhsa_tg_split 0
		.amdhsa_exception_fp_ieee_invalid_op 0
		.amdhsa_exception_fp_denorm_src 0
		.amdhsa_exception_fp_ieee_div_zero 0
		.amdhsa_exception_fp_ieee_overflow 0
		.amdhsa_exception_fp_ieee_underflow 0
		.amdhsa_exception_fp_ieee_inexact 0
		.amdhsa_exception_int_div_zero 0
	.end_amdhsa_kernel
	.section	.text._Z27kspmm_coo_very_sparse_naiveIaLi8ELi8EEvPiS0_S0_S0_S0_P6__halfPT_S2_Pfiiii,"axG",@progbits,_Z27kspmm_coo_very_sparse_naiveIaLi8ELi8EEvPiS0_S0_S0_S0_P6__halfPT_S2_Pfiiii,comdat
.Lfunc_end34:
	.size	_Z27kspmm_coo_very_sparse_naiveIaLi8ELi8EEvPiS0_S0_S0_S0_P6__halfPT_S2_Pfiiii, .Lfunc_end34-_Z27kspmm_coo_very_sparse_naiveIaLi8ELi8EEvPiS0_S0_S0_S0_P6__halfPT_S2_Pfiiii
                                        ; -- End function
	.section	.AMDGPU.csdata,"",@progbits
; Kernel info:
; codeLenInByte = 6084
; NumSgprs: 66
; NumVgprs: 32
; NumAgprs: 0
; TotalNumVgprs: 32
; ScratchSize: 208
; MemoryBound: 0
; FloatMode: 240
; IeeeMode: 1
; LDSByteSize: 4096 bytes/workgroup (compile time only)
; SGPRBlocks: 8
; VGPRBlocks: 3
; NumSGPRsForWavesPerEU: 66
; NumVGPRsForWavesPerEU: 32
; AccumOffset: 32
; Occupancy: 8
; WaveLimiterHint : 1
; COMPUTE_PGM_RSRC2:SCRATCH_EN: 1
; COMPUTE_PGM_RSRC2:USER_SGPR: 2
; COMPUTE_PGM_RSRC2:TRAP_HANDLER: 0
; COMPUTE_PGM_RSRC2:TGID_X_EN: 1
; COMPUTE_PGM_RSRC2:TGID_Y_EN: 0
; COMPUTE_PGM_RSRC2:TGID_Z_EN: 0
; COMPUTE_PGM_RSRC2:TIDIG_COMP_CNT: 0
; COMPUTE_PGM_RSRC3_GFX90A:ACCUM_OFFSET: 7
; COMPUTE_PGM_RSRC3_GFX90A:TG_SPLIT: 0
	.section	.text._Z27kspmm_coo_very_sparse_naiveIaLi16ELi8EEvPiS0_S0_S0_S0_P6__halfPT_S2_Pfiiii,"axG",@progbits,_Z27kspmm_coo_very_sparse_naiveIaLi16ELi8EEvPiS0_S0_S0_S0_P6__halfPT_S2_Pfiiii,comdat
